;; amdgpu-corpus repo=ROCm/rocFFT kind=compiled arch=gfx950 opt=O3
	.text
	.amdgcn_target "amdgcn-amd-amdhsa--gfx950"
	.amdhsa_code_object_version 6
	.protected	fft_rtc_back_len340_factors_17_2_10_wgs_102_tpt_34_halfLds_sp_op_CI_CI_unitstride_sbrr_R2C_dirReg ; -- Begin function fft_rtc_back_len340_factors_17_2_10_wgs_102_tpt_34_halfLds_sp_op_CI_CI_unitstride_sbrr_R2C_dirReg
	.globl	fft_rtc_back_len340_factors_17_2_10_wgs_102_tpt_34_halfLds_sp_op_CI_CI_unitstride_sbrr_R2C_dirReg
	.p2align	8
	.type	fft_rtc_back_len340_factors_17_2_10_wgs_102_tpt_34_halfLds_sp_op_CI_CI_unitstride_sbrr_R2C_dirReg,@function
fft_rtc_back_len340_factors_17_2_10_wgs_102_tpt_34_halfLds_sp_op_CI_CI_unitstride_sbrr_R2C_dirReg: ; @fft_rtc_back_len340_factors_17_2_10_wgs_102_tpt_34_halfLds_sp_op_CI_CI_unitstride_sbrr_R2C_dirReg
; %bb.0:
	s_load_dwordx4 s[4:7], s[0:1], 0x58
	s_load_dwordx4 s[8:11], s[0:1], 0x0
	;; [unrolled: 1-line block ×3, first 2 shown]
	v_mul_u32_u24_e32 v1, 0x788, v0
	v_lshrrev_b32_e32 v2, 16, v1
	v_mad_u64_u32 v[4:5], s[2:3], s2, 3, v[2:3]
	v_mov_b32_e32 v6, 0
	v_mov_b32_e32 v5, v6
	s_waitcnt lgkmcnt(0)
	v_cmp_lt_u64_e64 s[2:3], s[10:11], 2
	v_mov_b64_e32 v[2:3], 0
	s_and_b64 vcc, exec, s[2:3]
	v_mov_b64_e32 v[32:33], v[2:3]
	v_mov_b64_e32 v[34:35], v[4:5]
	s_cbranch_vccnz .LBB0_8
; %bb.1:
	s_load_dwordx2 s[2:3], s[0:1], 0x10
	s_add_u32 s16, s14, 8
	s_addc_u32 s17, s15, 0
	s_add_u32 s18, s12, 8
	s_addc_u32 s19, s13, 0
	s_waitcnt lgkmcnt(0)
	s_add_u32 s20, s2, 8
	v_mov_b64_e32 v[2:3], 0
	s_addc_u32 s21, s3, 0
	s_mov_b64 s[22:23], 1
	v_mov_b64_e32 v[32:33], v[2:3]
	v_mov_b64_e32 v[8:9], v[4:5]
.LBB0_2:                                ; =>This Inner Loop Header: Depth=1
	s_load_dwordx2 s[24:25], s[20:21], 0x0
                                        ; implicit-def: $vgpr34_vgpr35
	s_waitcnt lgkmcnt(0)
	v_or_b32_e32 v7, s25, v9
	v_cmp_ne_u64_e32 vcc, 0, v[6:7]
	s_and_saveexec_b64 s[2:3], vcc
	s_xor_b64 s[26:27], exec, s[2:3]
	s_cbranch_execz .LBB0_4
; %bb.3:                                ;   in Loop: Header=BB0_2 Depth=1
	v_cvt_f32_u32_e32 v1, s24
	v_cvt_f32_u32_e32 v5, s25
	s_sub_u32 s2, 0, s24
	s_subb_u32 s3, 0, s25
	v_fmac_f32_e32 v1, 0x4f800000, v5
	v_rcp_f32_e32 v1, v1
	s_nop 0
	v_mul_f32_e32 v1, 0x5f7ffffc, v1
	v_mul_f32_e32 v5, 0x2f800000, v1
	v_trunc_f32_e32 v5, v5
	v_fmac_f32_e32 v1, 0xcf800000, v5
	v_cvt_u32_f32_e32 v5, v5
	v_cvt_u32_f32_e32 v1, v1
	v_mul_lo_u32 v7, s2, v5
	v_mul_hi_u32 v10, s2, v1
	v_mul_lo_u32 v11, s3, v1
	v_add_u32_e32 v7, v10, v7
	v_mul_lo_u32 v14, s2, v1
	v_add_u32_e32 v7, v7, v11
	v_mul_hi_u32 v10, v1, v14
	v_mul_hi_u32 v13, v1, v7
	v_mul_lo_u32 v12, v1, v7
	v_mov_b32_e32 v11, v6
	v_lshl_add_u64 v[10:11], v[10:11], 0, v[12:13]
	v_mul_hi_u32 v13, v5, v14
	v_mul_lo_u32 v14, v5, v14
	v_add_co_u32_e32 v10, vcc, v10, v14
	v_mul_hi_u32 v12, v5, v7
	s_nop 0
	v_addc_co_u32_e32 v10, vcc, v11, v13, vcc
	v_mov_b32_e32 v11, v6
	s_nop 0
	v_addc_co_u32_e32 v13, vcc, 0, v12, vcc
	v_mul_lo_u32 v12, v5, v7
	v_lshl_add_u64 v[10:11], v[10:11], 0, v[12:13]
	v_add_co_u32_e32 v1, vcc, v1, v10
	v_mul_hi_u32 v10, s2, v1
	s_nop 0
	v_addc_co_u32_e32 v5, vcc, v5, v11, vcc
	v_mul_lo_u32 v7, s2, v5
	v_add_u32_e32 v7, v10, v7
	v_mul_lo_u32 v10, s3, v1
	v_add_u32_e32 v7, v7, v10
	v_mul_lo_u32 v12, s2, v1
	v_mul_hi_u32 v15, v5, v12
	v_mul_lo_u32 v16, v5, v12
	v_mul_hi_u32 v11, v1, v7
	;; [unrolled: 2-line block ×3, first 2 shown]
	v_mov_b32_e32 v13, v6
	v_lshl_add_u64 v[10:11], v[12:13], 0, v[10:11]
	v_add_co_u32_e32 v10, vcc, v10, v16
	v_mul_hi_u32 v14, v5, v7
	s_nop 0
	v_addc_co_u32_e32 v10, vcc, v11, v15, vcc
	v_mul_lo_u32 v12, v5, v7
	s_nop 0
	v_addc_co_u32_e32 v13, vcc, 0, v14, vcc
	v_mov_b32_e32 v11, v6
	v_lshl_add_u64 v[10:11], v[10:11], 0, v[12:13]
	v_add_co_u32_e32 v1, vcc, v1, v10
	v_mul_hi_u32 v12, v8, v1
	s_nop 0
	v_addc_co_u32_e32 v5, vcc, v5, v11, vcc
	v_mad_u64_u32 v[10:11], s[2:3], v8, v5, 0
	v_mov_b32_e32 v13, v6
	v_lshl_add_u64 v[10:11], v[12:13], 0, v[10:11]
	v_mad_u64_u32 v[14:15], s[2:3], v9, v1, 0
	v_add_co_u32_e32 v1, vcc, v10, v14
	v_mad_u64_u32 v[12:13], s[2:3], v9, v5, 0
	s_nop 0
	v_addc_co_u32_e32 v10, vcc, v11, v15, vcc
	v_mov_b32_e32 v11, v6
	s_nop 0
	v_addc_co_u32_e32 v13, vcc, 0, v13, vcc
	v_lshl_add_u64 v[10:11], v[10:11], 0, v[12:13]
	v_mul_lo_u32 v1, s25, v10
	v_mul_lo_u32 v5, s24, v11
	v_mad_u64_u32 v[12:13], s[2:3], s24, v10, 0
	v_add3_u32 v1, v13, v5, v1
	v_sub_u32_e32 v5, v9, v1
	v_mov_b32_e32 v7, s25
	v_sub_co_u32_e32 v16, vcc, v8, v12
	v_lshl_add_u64 v[14:15], v[10:11], 0, 1
	s_nop 0
	v_subb_co_u32_e64 v5, s[2:3], v5, v7, vcc
	v_subrev_co_u32_e64 v7, s[2:3], s24, v16
	v_subb_co_u32_e32 v1, vcc, v9, v1, vcc
	s_nop 0
	v_subbrev_co_u32_e64 v5, s[2:3], 0, v5, s[2:3]
	v_cmp_le_u32_e64 s[2:3], s25, v5
	v_cmp_le_u32_e32 vcc, s25, v1
	s_nop 0
	v_cndmask_b32_e64 v12, 0, -1, s[2:3]
	v_cmp_le_u32_e64 s[2:3], s24, v7
	s_nop 1
	v_cndmask_b32_e64 v7, 0, -1, s[2:3]
	v_cmp_eq_u32_e64 s[2:3], s25, v5
	s_nop 1
	v_cndmask_b32_e64 v5, v12, v7, s[2:3]
	v_lshl_add_u64 v[12:13], v[10:11], 0, 2
	v_cmp_ne_u32_e64 s[2:3], 0, v5
	v_cndmask_b32_e64 v7, 0, -1, vcc
	v_cmp_le_u32_e32 vcc, s24, v16
	v_cndmask_b32_e64 v5, v15, v13, s[2:3]
	s_nop 0
	v_cndmask_b32_e64 v13, 0, -1, vcc
	v_cmp_eq_u32_e32 vcc, s25, v1
	s_nop 1
	v_cndmask_b32_e32 v1, v7, v13, vcc
	v_cmp_ne_u32_e32 vcc, 0, v1
	v_cndmask_b32_e64 v1, v14, v12, s[2:3]
	s_nop 0
	v_cndmask_b32_e32 v35, v11, v5, vcc
	v_cndmask_b32_e32 v34, v10, v1, vcc
.LBB0_4:                                ;   in Loop: Header=BB0_2 Depth=1
	s_andn2_saveexec_b64 s[2:3], s[26:27]
	s_cbranch_execz .LBB0_6
; %bb.5:                                ;   in Loop: Header=BB0_2 Depth=1
	v_cvt_f32_u32_e32 v1, s24
	s_sub_i32 s26, 0, s24
	v_mov_b32_e32 v35, v6
	v_rcp_iflag_f32_e32 v1, v1
	s_nop 0
	v_mul_f32_e32 v1, 0x4f7ffffe, v1
	v_cvt_u32_f32_e32 v1, v1
	v_mul_lo_u32 v5, s26, v1
	v_mul_hi_u32 v5, v1, v5
	v_add_u32_e32 v1, v1, v5
	v_mul_hi_u32 v1, v8, v1
	v_mul_lo_u32 v5, v1, s24
	v_sub_u32_e32 v5, v8, v5
	v_add_u32_e32 v7, 1, v1
	v_subrev_u32_e32 v10, s24, v5
	v_cmp_le_u32_e32 vcc, s24, v5
	s_nop 1
	v_cndmask_b32_e32 v5, v5, v10, vcc
	v_cndmask_b32_e32 v1, v1, v7, vcc
	v_add_u32_e32 v7, 1, v1
	v_cmp_le_u32_e32 vcc, s24, v5
	s_nop 1
	v_cndmask_b32_e32 v34, v1, v7, vcc
.LBB0_6:                                ;   in Loop: Header=BB0_2 Depth=1
	s_or_b64 exec, exec, s[2:3]
	v_mad_u64_u32 v[10:11], s[2:3], v34, s24, 0
	s_load_dwordx2 s[2:3], s[18:19], 0x0
	s_add_u32 s22, s22, 1
	v_mul_lo_u32 v1, v35, s24
	v_mul_lo_u32 v5, v34, s25
	s_load_dwordx2 s[24:25], s[16:17], 0x0
	s_addc_u32 s23, s23, 0
	v_add3_u32 v1, v11, v5, v1
	v_sub_co_u32_e32 v5, vcc, v8, v10
	s_add_u32 s16, s16, 8
	s_nop 0
	v_subb_co_u32_e32 v1, vcc, v9, v1, vcc
	s_addc_u32 s17, s17, 0
	s_waitcnt lgkmcnt(0)
	v_mul_lo_u32 v7, s2, v1
	v_mul_lo_u32 v8, s3, v5
	v_mad_u64_u32 v[2:3], s[2:3], s2, v5, v[2:3]
	s_add_u32 s18, s18, 8
	v_add3_u32 v3, v8, v3, v7
	s_addc_u32 s19, s19, 0
	v_mov_b64_e32 v[8:9], s[10:11]
	v_mul_lo_u32 v1, s24, v1
	v_mul_lo_u32 v7, s25, v5
	v_mad_u64_u32 v[32:33], s[2:3], s24, v5, v[32:33]
	s_add_u32 s20, s20, 8
	v_cmp_ge_u64_e32 vcc, s[22:23], v[8:9]
	v_add3_u32 v33, v7, v33, v1
	s_addc_u32 s21, s21, 0
	s_cbranch_vccnz .LBB0_8
; %bb.7:                                ;   in Loop: Header=BB0_2 Depth=1
	v_mov_b64_e32 v[8:9], v[34:35]
	s_branch .LBB0_2
.LBB0_8:
	s_load_dwordx2 s[0:1], s[0:1], 0x28
	s_lshl_b64 s[10:11], s[10:11], 3
	s_add_u32 s2, s14, s10
	s_mov_b32 s14, 0xaaaaaaab
	v_mul_hi_u32 v1, v4, s14
	v_lshrrev_b32_e32 v1, 1, v1
	v_lshl_add_u32 v1, v1, 1, v1
	s_addc_u32 s3, s15, s11
	v_sub_u32_e32 v1, v4, v1
	s_waitcnt lgkmcnt(0)
	v_cmp_gt_u64_e32 vcc, s[0:1], v[34:35]
	v_cmp_le_u64_e64 s[0:1], s[0:1], v[34:35]
                                        ; implicit-def: $vgpr36
	s_and_saveexec_b64 s[14:15], s[0:1]
	s_xor_b64 s[0:1], exec, s[14:15]
; %bb.9:
	s_mov_b32 s14, 0x7878788
	v_mul_hi_u32 v2, v0, s14
	v_mul_u32_u24_e32 v2, 34, v2
	v_sub_u32_e32 v36, v0, v2
                                        ; implicit-def: $vgpr0
                                        ; implicit-def: $vgpr2_vgpr3
; %bb.10:
	s_or_saveexec_b64 s[0:1], s[0:1]
	v_mul_u32_u24_e32 v1, 0x155, v1
	v_lshlrev_b32_e32 v37, 3, v1
	s_xor_b64 exec, exec, s[0:1]
	s_cbranch_execz .LBB0_12
; %bb.11:
	s_add_u32 s10, s12, s10
	s_addc_u32 s11, s13, s11
	s_load_dwordx2 s[10:11], s[10:11], 0x0
	s_mov_b32 s12, 0x7878788
	s_waitcnt lgkmcnt(0)
	v_mul_lo_u32 v1, s11, v34
	v_mul_lo_u32 v6, s10, v35
	v_mad_u64_u32 v[4:5], s[10:11], s10, v34, 0
	v_add3_u32 v5, v5, v6, v1
	v_mul_hi_u32 v1, v0, s12
	v_mul_u32_u24_e32 v1, 34, v1
	v_sub_u32_e32 v36, v0, v1
	v_lshl_add_u64 v[0:1], v[4:5], 3, s[4:5]
	v_lshl_add_u64 v[0:1], v[2:3], 3, v[0:1]
	v_lshlrev_b32_e32 v2, 3, v36
	v_mov_b32_e32 v3, 0
	v_lshl_add_u64 v[0:1], v[0:1], 0, v[2:3]
	global_load_dwordx2 v[4:5], v[0:1], off
	global_load_dwordx2 v[6:7], v[0:1], off offset:272
	global_load_dwordx2 v[8:9], v[0:1], off offset:544
	;; [unrolled: 1-line block ×9, first 2 shown]
	v_add3_u32 v0, 0, v37, v2
	v_add_u32_e32 v1, 0x800, v0
	s_waitcnt vmcnt(8)
	ds_write2_b64 v0, v[4:5], v[6:7] offset1:34
	s_waitcnt vmcnt(6)
	ds_write2_b64 v0, v[8:9], v[10:11] offset0:68 offset1:102
	s_waitcnt vmcnt(4)
	ds_write2_b64 v0, v[12:13], v[14:15] offset0:136 offset1:170
	;; [unrolled: 2-line block ×4, first 2 shown]
.LBB0_12:
	s_or_b64 exec, exec, s[0:1]
	v_lshlrev_b32_e32 v64, 3, v36
	v_add_u32_e32 v59, 0, v37
	v_add3_u32 v202, 0, v64, v37
	s_waitcnt lgkmcnt(0)
	s_barrier
	v_add_u32_e32 v203, v59, v64
	ds_read2_b64 v[20:23], v202 offset0:20 offset1:40
	ds_read_b64 v[38:39], v203
	ds_read2_b64 v[12:15], v202 offset0:60 offset1:80
	ds_read2_b64 v[8:11], v202 offset0:100 offset1:120
	;; [unrolled: 1-line block ×5, first 2 shown]
	v_add_u32_e32 v65, 0x800, v202
	ds_read2_b64 v[24:27], v65 offset0:4 offset1:24
	ds_read2_b64 v[28:31], v65 offset0:44 offset1:64
	v_cmp_gt_u32_e64 s[0:1], 20, v36
	s_waitcnt lgkmcnt(0)
	s_barrier
	s_and_saveexec_b64 s[4:5], s[0:1]
	s_cbranch_execz .LBB0_14
; %bb.13:
	v_pk_add_f32 v[40:41], v[38:39], v[20:21]
	v_pk_add_f32 v[134:135], v[20:21], v[30:31] neg_lo:[0,1] neg_hi:[0,1]
	v_pk_add_f32 v[40:41], v[40:41], v[22:23]
	s_mov_b32 s24, 0xbeb8f4ab
	v_pk_add_f32 v[40:41], v[40:41], v[12:13]
	v_pk_add_f32 v[132:133], v[30:31], v[20:21]
	;; [unrolled: 1-line block ×3, first 2 shown]
	v_pk_add_f32 v[130:131], v[22:23], v[28:29] neg_lo:[0,1] neg_hi:[0,1]
	v_pk_add_f32 v[40:41], v[40:41], v[8:9]
	v_pk_add_f32 v[80:81], v[4:5], v[2:3]
	;; [unrolled: 1-line block ×3, first 2 shown]
	v_pk_add_f32 v[86:87], v[2:3], v[4:5] neg_lo:[0,1] neg_hi:[0,1]
	v_pk_add_f32 v[40:41], v[40:41], v[0:1]
	s_mov_b32 s14, 0x3f6eb680
	v_pk_add_f32 v[40:41], v[40:41], v[2:3]
	v_pk_mul_f32 v[2:3], v[134:135], s[24:25] op_sel_hi:[1,0]
	v_pk_add_f32 v[40:41], v[40:41], v[4:5]
	s_mov_b32 s38, 0xbf2c7751
	v_pk_add_f32 v[40:41], v[40:41], v[6:7]
	v_pk_add_f32 v[128:129], v[28:29], v[22:23]
	;; [unrolled: 1-line block ×3, first 2 shown]
	v_pk_add_f32 v[94:95], v[0:1], v[6:7] neg_lo:[0,1] neg_hi:[0,1]
	v_pk_fma_f32 v[4:5], v[132:133], s[14:15], v[2:3] op_sel:[0,0,1] op_sel_hi:[1,0,0]
	v_pk_fma_f32 v[214:215], v[132:133], s[14:15], v[2:3] op_sel:[0,0,1] op_sel_hi:[1,0,0] neg_lo:[0,0,1] neg_hi:[0,0,1]
	s_mov_b32 s12, 0x3f3d2fb0
	v_pk_mul_f32 v[6:7], v[130:131], s[38:39] op_sel_hi:[1,0]
	v_pk_add_f32 v[96:97], v[16:17], v[10:11]
	v_pk_add_f32 v[102:103], v[10:11], v[16:17] neg_lo:[0,1] neg_hi:[0,1]
	v_accvgpr_write_b32 a1, v5
	v_mov_b32_e32 v5, v215
	v_pk_fma_f32 v[10:11], v[128:129], s[12:13], v[6:7] op_sel:[0,0,1] op_sel_hi:[1,0,0]
	v_pk_fma_f32 v[174:175], v[128:129], s[12:13], v[6:7] op_sel:[0,0,1] op_sel_hi:[1,0,0] neg_lo:[0,0,1] neg_hi:[0,0,1]
	v_pk_add_f32 v[126:127], v[12:13], v[26:27] neg_lo:[0,1] neg_hi:[0,1]
	v_pk_add_f32 v[108:109], v[18:19], v[8:9]
	v_pk_add_f32 v[114:115], v[8:9], v[18:19] neg_lo:[0,1] neg_hi:[0,1]
	v_pk_add_f32 v[8:9], v[38:39], v[4:5]
	v_accvgpr_write_b32 a3, v11
	v_mov_b32_e32 v11, v175
	s_mov_b32 s46, 0xbf65296c
	v_pk_add_f32 v[124:125], v[26:27], v[12:13]
	v_pk_add_f32 v[12:13], v[10:11], v[8:9]
	s_mov_b32 s10, 0x3ee437d1
	v_pk_mul_f32 v[10:11], v[126:127], s[46:47] op_sel_hi:[1,0]
	v_pk_add_f32 v[116:117], v[24:25], v[14:15]
	v_pk_add_f32 v[122:123], v[14:15], v[24:25] neg_lo:[0,1] neg_hi:[0,1]
	v_pk_fma_f32 v[14:15], v[124:125], s[10:11], v[10:11] op_sel:[0,0,1] op_sel_hi:[1,0,0]
	v_pk_fma_f32 v[46:47], v[124:125], s[10:11], v[10:11] op_sel:[0,0,1] op_sel_hi:[1,0,0] neg_lo:[0,0,1] neg_hi:[0,0,1]
	v_accvgpr_write_b32 a5, v15
	v_mov_b32_e32 v15, v47
	s_mov_b32 s36, 0xbf7ee86f
	v_pk_add_f32 v[40:41], v[40:41], v[16:17]
	v_pk_add_f32 v[16:17], v[14:15], v[12:13]
	s_mov_b32 s0, 0x3dbcf732
	v_pk_mul_f32 v[14:15], v[122:123], s[36:37] op_sel_hi:[1,0]
	v_pk_add_f32 v[40:41], v[40:41], v[18:19]
	v_pk_fma_f32 v[18:19], v[116:117], s[0:1], v[14:15] op_sel:[0,0,1] op_sel_hi:[1,0,0]
	v_pk_fma_f32 v[14:15], v[116:117], s[0:1], v[14:15] op_sel:[0,0,1] op_sel_hi:[1,0,0] neg_lo:[0,0,1] neg_hi:[0,0,1]
	v_accvgpr_write_b32 a7, v19
	v_mov_b32_e32 v19, v15
	s_mov_b32 s18, 0xbf763a35
	v_pk_add_f32 v[20:21], v[18:19], v[16:17]
	s_mov_b32 s16, 0xbe8c1d8e
	v_pk_mul_f32 v[18:19], v[114:115], s[18:19] op_sel_hi:[1,0]
	s_mov_b32 s22, 0xbf4c4adb
	v_pk_fma_f32 v[22:23], v[108:109], s[16:17], v[18:19] op_sel:[0,0,1] op_sel_hi:[1,0,0]
	v_pk_fma_f32 v[18:19], v[108:109], s[16:17], v[18:19] op_sel:[0,0,1] op_sel_hi:[1,0,0] neg_lo:[0,0,1] neg_hi:[0,0,1]
	v_accvgpr_write_b32 a9, v23
	v_mov_b32_e32 v23, v19
	v_pk_add_f32 v[40:41], v[40:41], v[24:25]
	v_pk_add_f32 v[24:25], v[22:23], v[20:21]
	s_mov_b32 s20, 0xbf1a4643
	v_pk_mul_f32 v[22:23], v[102:103], s[22:23] op_sel_hi:[1,0]
	v_pk_add_f32 v[40:41], v[40:41], v[26:27]
	v_pk_fma_f32 v[20:21], v[96:97], s[20:21], v[22:23] op_sel:[0,0,1] op_sel_hi:[1,0,0]
	v_pk_fma_f32 v[22:23], v[96:97], s[20:21], v[22:23] op_sel:[0,0,1] op_sel_hi:[1,0,0] neg_lo:[0,0,1] neg_hi:[0,0,1]
	v_mov_b32_e32 v26, v20
	v_mov_b32_e32 v27, v23
	s_mov_b32 s28, 0xbf06c442
	v_pk_add_f32 v[40:41], v[40:41], v[28:29]
	v_pk_add_f32 v[28:29], v[26:27], v[24:25]
	s_mov_b32 s26, 0xbf59a7d5
	v_pk_mul_f32 v[26:27], v[94:95], s[28:29] op_sel_hi:[1,0]
	v_pk_add_f32 v[40:41], v[40:41], v[30:31]
	v_pk_fma_f32 v[30:31], v[92:93], s[26:27], v[26:27] op_sel:[0,0,1] op_sel_hi:[1,0,0]
	v_pk_fma_f32 v[26:27], v[92:93], s[26:27], v[26:27] op_sel:[0,0,1] op_sel_hi:[1,0,0] neg_lo:[0,0,1] neg_hi:[0,0,1]
	v_accvgpr_write_b32 a11, v31
	v_mov_b32_e32 v31, v27
	s_mov_b32 s34, 0xbe3c28d5
	v_pk_add_f32 v[42:43], v[30:31], v[28:29]
	s_mov_b32 s30, 0xbf7ba420
	v_pk_mul_f32 v[30:31], v[86:87], s[34:35] op_sel_hi:[1,0]
	v_mul_u32_u24_e32 v0, 0x88, v36
	v_pk_fma_f32 v[44:45], v[80:81], s[30:31], v[30:31] op_sel:[0,0,1] op_sel_hi:[1,0,0]
	v_pk_fma_f32 v[30:31], v[80:81], s[30:31], v[30:31] op_sel:[0,0,1] op_sel_hi:[1,0,0] neg_lo:[0,0,1] neg_hi:[0,0,1]
	v_accvgpr_write_b32 a13, v45
	v_mov_b32_e32 v45, v31
	v_pk_add_f32 v[42:43], v[44:45], v[42:43]
	v_add3_u32 v20, 0, v0, v37
	ds_write2_b64 v20, v[40:41], v[42:43] offset1:1
	v_pk_mul_f32 v[40:41], v[134:135], s[38:39] op_sel_hi:[1,0]
	v_mov_b32_e32 v15, v59
	v_pk_fma_f32 v[44:45], v[132:133], s[12:13], v[40:41] op_sel:[0,0,1] op_sel_hi:[1,0,0]
	v_pk_fma_f32 v[40:41], v[132:133], s[12:13], v[40:41] op_sel:[0,0,1] op_sel_hi:[1,0,0] neg_lo:[0,0,1] neg_hi:[0,0,1]
	v_mov_b32_e32 v23, v45
	v_mov_b32_e32 v45, v41
	v_pk_add_f32 v[48:49], v[38:39], v[44:45]
	v_pk_mul_f32 v[44:45], v[130:131], s[36:37] op_sel_hi:[1,0]
	s_mov_b32 s50, 0x3f06c442
	v_pk_fma_f32 v[42:43], v[128:129], s[0:1], v[44:45] op_sel:[0,0,1] op_sel_hi:[1,0,0]
	v_pk_fma_f32 v[44:45], v[128:129], s[0:1], v[44:45] op_sel:[0,0,1] op_sel_hi:[1,0,0] neg_lo:[0,0,1] neg_hi:[0,0,1]
	v_mov_b32_e32 v50, v42
	v_mov_b32_e32 v51, v45
	v_pk_add_f32 v[52:53], v[50:51], v[48:49]
	v_pk_mul_f32 v[50:51], v[126:127], s[22:23] op_sel_hi:[1,0]
	s_mov_b32 s48, 0x3f763a35
	v_pk_fma_f32 v[48:49], v[124:125], s[20:21], v[50:51] op_sel:[0,0,1] op_sel_hi:[1,0,0]
	v_pk_fma_f32 v[50:51], v[124:125], s[20:21], v[50:51] op_sel:[0,0,1] op_sel_hi:[1,0,0] neg_lo:[0,0,1] neg_hi:[0,0,1]
	v_mov_b32_e32 v54, v48
	v_mov_b32_e32 v55, v51
	v_pk_add_f32 v[56:57], v[54:55], v[52:53]
	v_pk_mul_f32 v[54:55], v[122:123], s[34:35] op_sel_hi:[1,0]
	v_mov_b32_e32 v0, v64
	v_pk_fma_f32 v[52:53], v[116:117], s[30:31], v[54:55] op_sel:[0,0,1] op_sel_hi:[1,0,0]
	v_pk_fma_f32 v[54:55], v[116:117], s[30:31], v[54:55] op_sel:[0,0,1] op_sel_hi:[1,0,0] neg_lo:[0,0,1] neg_hi:[0,0,1]
	v_mov_b32_e32 v58, v52
	v_mov_b32_e32 v59, v55
	v_pk_add_f32 v[60:61], v[58:59], v[56:57]
	v_pk_mul_f32 v[58:59], v[114:115], s[50:51] op_sel_hi:[1,0]
	v_mov_b32_e32 v19, v65
	v_pk_fma_f32 v[56:57], v[108:109], s[26:27], v[58:59] op_sel:[0,0,1] op_sel_hi:[1,0,0]
	v_pk_fma_f32 v[58:59], v[108:109], s[26:27], v[58:59] op_sel:[0,0,1] op_sel_hi:[1,0,0] neg_lo:[0,0,1] neg_hi:[0,0,1]
	v_mov_b32_e32 v62, v56
	v_mov_b32_e32 v63, v59
	v_pk_add_f32 v[64:65], v[62:63], v[60:61]
	v_pk_mul_f32 v[62:63], v[102:103], s[48:49] op_sel_hi:[1,0]
	s_mov_b32 s40, 0x3f65296c
	v_pk_fma_f32 v[60:61], v[96:97], s[16:17], v[62:63] op_sel:[0,0,1] op_sel_hi:[1,0,0]
	v_pk_fma_f32 v[62:63], v[96:97], s[16:17], v[62:63] op_sel:[0,0,1] op_sel_hi:[1,0,0] neg_lo:[0,0,1] neg_hi:[0,0,1]
	v_mov_b32_e32 v66, v60
	v_mov_b32_e32 v67, v63
	v_pk_add_f32 v[68:69], v[66:67], v[64:65]
	v_pk_mul_f32 v[66:67], v[94:95], s[40:41] op_sel_hi:[1,0]
	s_mov_b32 s42, 0x3eb8f4ab
	v_pk_fma_f32 v[64:65], v[92:93], s[10:11], v[66:67] op_sel:[0,0,1] op_sel_hi:[1,0,0]
	v_pk_fma_f32 v[66:67], v[92:93], s[10:11], v[66:67] op_sel:[0,0,1] op_sel_hi:[1,0,0] neg_lo:[0,0,1] neg_hi:[0,0,1]
	v_mov_b32_e32 v70, v64
	v_mov_b32_e32 v71, v67
	v_pk_add_f32 v[72:73], v[70:71], v[68:69]
	v_pk_mul_f32 v[70:71], v[86:87], s[42:43] op_sel_hi:[1,0]
	s_mov_b32 s44, 0x3e3c28d5
	v_pk_fma_f32 v[68:69], v[80:81], s[14:15], v[70:71] op_sel:[0,0,1] op_sel_hi:[1,0,0]
	v_pk_fma_f32 v[70:71], v[80:81], s[14:15], v[70:71] op_sel:[0,0,1] op_sel_hi:[1,0,0] neg_lo:[0,0,1] neg_hi:[0,0,1]
	v_mov_b32_e32 v74, v68
	v_mov_b32_e32 v75, v71
	v_pk_add_f32 v[136:137], v[74:75], v[72:73]
	v_pk_mul_f32 v[72:73], v[134:135], s[46:47] op_sel_hi:[1,0]
	s_mov_b32 s52, 0x3f4c4adb
	v_pk_fma_f32 v[74:75], v[132:133], s[10:11], v[72:73] op_sel:[0,0,1] op_sel_hi:[1,0,0]
	v_pk_fma_f32 v[72:73], v[132:133], s[10:11], v[72:73] op_sel:[0,0,1] op_sel_hi:[1,0,0] neg_lo:[0,0,1] neg_hi:[0,0,1]
	v_mov_b32_e32 v76, v74
	v_mov_b32_e32 v77, v73
	v_pk_add_f32 v[82:83], v[38:39], v[76:77]
	v_pk_mul_f32 v[76:77], v[130:131], s[22:23] op_sel_hi:[1,0]
	v_pk_mul_f32 v[212:213], v[130:131], s[48:49] op_sel_hi:[1,0]
	v_pk_fma_f32 v[28:29], v[128:129], s[20:21], v[76:77] op_sel:[0,0,1] op_sel_hi:[1,0,0]
	v_pk_fma_f32 v[76:77], v[128:129], s[20:21], v[76:77] op_sel:[0,0,1] op_sel_hi:[1,0,0] neg_lo:[0,0,1] neg_hi:[0,0,1]
	v_mov_b32_e32 v84, v28
	v_mov_b32_e32 v85, v77
	v_pk_add_f32 v[88:89], v[84:85], v[82:83]
	v_pk_mul_f32 v[84:85], v[126:127], s[44:45] op_sel_hi:[1,0]
	s_mov_b32 s44, 0x3f2c7751
	v_pk_fma_f32 v[82:83], v[124:125], s[30:31], v[84:85] op_sel:[0,0,1] op_sel_hi:[1,0,0]
	v_pk_fma_f32 v[84:85], v[124:125], s[30:31], v[84:85] op_sel:[0,0,1] op_sel_hi:[1,0,0] neg_lo:[0,0,1] neg_hi:[0,0,1]
	v_mov_b32_e32 v90, v82
	v_mov_b32_e32 v91, v85
	v_pk_add_f32 v[98:99], v[90:91], v[88:89]
	v_pk_mul_f32 v[90:91], v[122:123], s[48:49] op_sel_hi:[1,0]
	v_pk_fma_f32 v[12:13], v[128:129], s[16:17], v[212:213] op_sel:[0,0,1] op_sel_hi:[1,0,0]
	v_pk_fma_f32 v[88:89], v[116:117], s[16:17], v[90:91] op_sel:[0,0,1] op_sel_hi:[1,0,0]
	v_pk_fma_f32 v[90:91], v[116:117], s[16:17], v[90:91] op_sel:[0,0,1] op_sel_hi:[1,0,0] neg_lo:[0,0,1] neg_hi:[0,0,1]
	v_mov_b32_e32 v100, v88
	v_mov_b32_e32 v101, v91
	v_pk_add_f32 v[104:105], v[100:101], v[98:99]
	v_pk_mul_f32 v[100:101], v[114:115], s[44:45] op_sel_hi:[1,0]
	v_pk_fma_f32 v[212:213], v[128:129], s[16:17], v[212:213] op_sel:[0,0,1] op_sel_hi:[1,0,0] neg_lo:[0,0,1] neg_hi:[0,0,1]
	v_pk_fma_f32 v[98:99], v[108:109], s[12:13], v[100:101] op_sel:[0,0,1] op_sel_hi:[1,0,0]
	v_pk_fma_f32 v[100:101], v[108:109], s[12:13], v[100:101] op_sel:[0,0,1] op_sel_hi:[1,0,0] neg_lo:[0,0,1] neg_hi:[0,0,1]
	v_mov_b32_e32 v106, v98
	v_mov_b32_e32 v107, v101
	v_pk_add_f32 v[110:111], v[106:107], v[104:105]
	v_pk_mul_f32 v[106:107], v[102:103], s[24:25] op_sel_hi:[1,0]
	v_mov_b32_e32 v216, v12
	v_pk_fma_f32 v[104:105], v[96:97], s[14:15], v[106:107] op_sel:[0,0,1] op_sel_hi:[1,0,0]
	v_pk_fma_f32 v[106:107], v[96:97], s[14:15], v[106:107] op_sel:[0,0,1] op_sel_hi:[1,0,0] neg_lo:[0,0,1] neg_hi:[0,0,1]
	v_mov_b32_e32 v112, v104
	v_mov_b32_e32 v113, v107
	v_pk_add_f32 v[118:119], v[112:113], v[110:111]
	v_pk_mul_f32 v[112:113], v[94:95], s[36:37] op_sel_hi:[1,0]
	v_mov_b32_e32 v217, v213
	v_pk_fma_f32 v[110:111], v[92:93], s[0:1], v[112:113] op_sel:[0,0,1] op_sel_hi:[1,0,0]
	v_pk_fma_f32 v[112:113], v[92:93], s[0:1], v[112:113] op_sel:[0,0,1] op_sel_hi:[1,0,0] neg_lo:[0,0,1] neg_hi:[0,0,1]
	v_mov_b32_e32 v120, v110
	v_mov_b32_e32 v121, v113
	v_pk_add_f32 v[138:139], v[120:121], v[118:119]
	v_pk_mul_f32 v[120:121], v[86:87], s[28:29] op_sel_hi:[1,0]
	v_pk_mul_f32 v[246:247], v[130:131], s[40:41] op_sel_hi:[1,0]
	v_pk_fma_f32 v[118:119], v[80:81], s[26:27], v[120:121] op_sel:[0,0,1] op_sel_hi:[1,0,0]
	v_pk_fma_f32 v[120:121], v[80:81], s[26:27], v[120:121] op_sel:[0,0,1] op_sel_hi:[1,0,0] neg_lo:[0,0,1] neg_hi:[0,0,1]
	v_mov_b32_e32 v140, v118
	v_mov_b32_e32 v141, v121
	v_pk_add_f32 v[138:139], v[140:141], v[138:139]
	ds_write2_b64 v20, v[136:137], v[138:139] offset0:2 offset1:3
	v_pk_mul_f32 v[136:137], v[134:135], s[36:37] op_sel_hi:[1,0]
	v_pk_fma_f32 v[248:249], v[128:129], s[10:11], v[246:247] op_sel:[0,0,1] op_sel_hi:[1,0,0]
	v_pk_fma_f32 v[138:139], v[132:133], s[0:1], v[136:137] op_sel:[0,0,1] op_sel_hi:[1,0,0]
	v_pk_fma_f32 v[136:137], v[132:133], s[0:1], v[136:137] op_sel:[0,0,1] op_sel_hi:[1,0,0] neg_lo:[0,0,1] neg_hi:[0,0,1]
	v_mov_b32_e32 v140, v138
	v_mov_b32_e32 v141, v137
	v_pk_add_f32 v[144:145], v[38:39], v[140:141]
	v_pk_mul_f32 v[140:141], v[130:131], s[34:35] op_sel_hi:[1,0]
	v_pk_fma_f32 v[246:247], v[128:129], s[10:11], v[246:247] op_sel:[0,0,1] op_sel_hi:[1,0,0] neg_lo:[0,0,1] neg_hi:[0,0,1]
	v_pk_fma_f32 v[24:25], v[128:129], s[30:31], v[140:141] op_sel:[0,0,1] op_sel_hi:[1,0,0]
	v_pk_fma_f32 v[140:141], v[128:129], s[30:31], v[140:141] op_sel:[0,0,1] op_sel_hi:[1,0,0] neg_lo:[0,0,1] neg_hi:[0,0,1]
	v_mov_b32_e32 v146, v24
	v_mov_b32_e32 v147, v141
	v_pk_add_f32 v[148:149], v[146:147], v[144:145]
	v_pk_mul_f32 v[146:147], v[126:127], s[48:49] op_sel_hi:[1,0]
	v_mov_b32_e32 v250, v248
	v_pk_fma_f32 v[144:145], v[124:125], s[16:17], v[146:147] op_sel:[0,0,1] op_sel_hi:[1,0,0]
	v_pk_fma_f32 v[146:147], v[124:125], s[16:17], v[146:147] op_sel:[0,0,1] op_sel_hi:[1,0,0] neg_lo:[0,0,1] neg_hi:[0,0,1]
	v_mov_b32_e32 v150, v144
	v_mov_b32_e32 v151, v147
	v_pk_add_f32 v[152:153], v[150:151], v[148:149]
	v_pk_mul_f32 v[150:151], v[122:123], s[42:43] op_sel_hi:[1,0]
	v_mov_b32_e32 v251, v247
	;; [unrolled: 7-line block ×7, first 2 shown]
	v_pk_fma_f32 v[170:171], v[132:133], s[16:17], v[168:169] op_sel:[0,0,1] op_sel_hi:[1,0,0]
	v_pk_fma_f32 v[168:169], v[132:133], s[16:17], v[168:169] op_sel:[0,0,1] op_sel_hi:[1,0,0] neg_lo:[0,0,1] neg_hi:[0,0,1]
	v_mov_b32_e32 v172, v170
	v_mov_b32_e32 v173, v169
	v_pk_add_f32 v[176:177], v[38:39], v[172:173]
	v_pk_mul_f32 v[172:173], v[130:131], s[50:51] op_sel_hi:[1,0]
	v_pk_mul_f32 v[130:131], v[130:131], s[42:43] op_sel_hi:[1,0]
	v_pk_fma_f32 v[16:17], v[128:129], s[26:27], v[172:173] op_sel:[0,0,1] op_sel_hi:[1,0,0]
	v_pk_fma_f32 v[172:173], v[128:129], s[26:27], v[172:173] op_sel:[0,0,1] op_sel_hi:[1,0,0] neg_lo:[0,0,1] neg_hi:[0,0,1]
	v_mov_b32_e32 v178, v16
	v_mov_b32_e32 v179, v173
	v_pk_add_f32 v[180:181], v[178:179], v[176:177]
	v_pk_mul_f32 v[178:179], v[126:127], s[44:45] op_sel_hi:[1,0]
	v_mov_b32_e32 v169, v171
	v_pk_fma_f32 v[176:177], v[124:125], s[12:13], v[178:179] op_sel:[0,0,1] op_sel_hi:[1,0,0]
	v_pk_fma_f32 v[178:179], v[124:125], s[12:13], v[178:179] op_sel:[0,0,1] op_sel_hi:[1,0,0] neg_lo:[0,0,1] neg_hi:[0,0,1]
	v_mov_b32_e32 v182, v176
	v_mov_b32_e32 v183, v179
	v_pk_add_f32 v[184:185], v[182:183], v[180:181]
	v_pk_mul_f32 v[182:183], v[122:123], s[46:47] op_sel_hi:[1,0]
	s_mov_b32 s46, 0x3f7ee86f
	v_pk_fma_f32 v[180:181], v[116:117], s[10:11], v[182:183] op_sel:[0,0,1] op_sel_hi:[1,0,0]
	v_pk_fma_f32 v[182:183], v[116:117], s[10:11], v[182:183] op_sel:[0,0,1] op_sel_hi:[1,0,0] neg_lo:[0,0,1] neg_hi:[0,0,1]
	v_mov_b32_e32 v186, v180
	v_mov_b32_e32 v187, v183
	v_pk_add_f32 v[188:189], v[186:187], v[184:185]
	v_pk_mul_f32 v[186:187], v[114:115], s[34:35] op_sel_hi:[1,0]
	v_mov_b32_e32 v173, v17
	v_pk_fma_f32 v[184:185], v[108:109], s[30:31], v[186:187] op_sel:[0,0,1] op_sel_hi:[1,0,0]
	v_pk_fma_f32 v[186:187], v[108:109], s[30:31], v[186:187] op_sel:[0,0,1] op_sel_hi:[1,0,0] neg_lo:[0,0,1] neg_hi:[0,0,1]
	v_mov_b32_e32 v190, v184
	v_mov_b32_e32 v191, v187
	v_pk_add_f32 v[192:193], v[190:191], v[188:189]
	v_pk_mul_f32 v[190:191], v[102:103], s[46:47] op_sel_hi:[1,0]
	v_mov_b32_e32 v179, v177
	;; [unrolled: 7-line block ×4, first 2 shown]
	v_pk_fma_f32 v[196:197], v[80:81], s[20:21], v[198:199] op_sel:[0,0,1] op_sel_hi:[1,0,0]
	v_pk_fma_f32 v[198:199], v[80:81], s[20:21], v[198:199] op_sel:[0,0,1] op_sel_hi:[1,0,0] neg_lo:[0,0,1] neg_hi:[0,0,1]
	v_mov_b32_e32 v210, v196
	v_mov_b32_e32 v211, v199
	v_pk_add_f32 v[208:209], v[210:211], v[208:209]
	ds_write2_b64 v20, v[206:207], v[208:209] offset0:4 offset1:5
	v_pk_mul_f32 v[206:207], v[134:135], s[22:23] op_sel_hi:[1,0]
	v_mov_b32_e32 v151, v149
	v_pk_fma_f32 v[208:209], v[132:133], s[20:21], v[206:207] op_sel:[0,0,1] op_sel_hi:[1,0,0]
	v_pk_fma_f32 v[206:207], v[132:133], s[20:21], v[206:207] op_sel:[0,0,1] op_sel_hi:[1,0,0] neg_lo:[0,0,1] neg_hi:[0,0,1]
	v_mov_b32_e32 v210, v208
	v_mov_b32_e32 v211, v207
	v_pk_add_f32 v[210:211], v[38:39], v[210:211]
	v_mov_b32_e32 v207, v209
	v_pk_add_f32 v[210:211], v[216:217], v[210:211]
	v_pk_mul_f32 v[216:217], v[126:127], s[24:25] op_sel_hi:[1,0]
	v_mov_b32_e32 v187, v185
	v_pk_fma_f32 v[218:219], v[124:125], s[14:15], v[216:217] op_sel:[0,0,1] op_sel_hi:[1,0,0]
	v_pk_fma_f32 v[216:217], v[124:125], s[14:15], v[216:217] op_sel:[0,0,1] op_sel_hi:[1,0,0] neg_lo:[0,0,1] neg_hi:[0,0,1]
	v_mov_b32_e32 v220, v218
	v_mov_b32_e32 v221, v217
	v_pk_add_f32 v[210:211], v[220:221], v[210:211]
	v_pk_mul_f32 v[220:221], v[122:123], s[28:29] op_sel_hi:[1,0]
	v_mov_b32_e32 v217, v219
	v_pk_fma_f32 v[222:223], v[116:117], s[26:27], v[220:221] op_sel:[0,0,1] op_sel_hi:[1,0,0]
	v_pk_fma_f32 v[220:221], v[116:117], s[26:27], v[220:221] op_sel:[0,0,1] op_sel_hi:[1,0,0] neg_lo:[0,0,1] neg_hi:[0,0,1]
	v_mov_b32_e32 v224, v222
	;; [unrolled: 7-line block ×7, first 2 shown]
	v_mov_b32_e32 v245, v241
	v_pk_add_f32 v[244:245], v[38:39], v[244:245]
	v_mov_b32_e32 v241, v243
	v_pk_add_f32 v[244:245], v[250:251], v[244:245]
	v_pk_mul_f32 v[250:251], v[126:127], s[36:37] op_sel_hi:[1,0]
	v_pk_mul_f32 v[126:127], v[126:127], s[28:29] op_sel_hi:[1,0]
	v_pk_fma_f32 v[252:253], v[124:125], s[0:1], v[250:251] op_sel:[0,0,1] op_sel_hi:[1,0,0]
	v_pk_fma_f32 v[250:251], v[124:125], s[0:1], v[250:251] op_sel:[0,0,1] op_sel_hi:[1,0,0] neg_lo:[0,0,1] neg_hi:[0,0,1]
	v_mov_b32_e32 v254, v252
	v_mov_b32_e32 v255, v251
	v_pk_add_f32 v[244:245], v[254:255], v[244:245]
	v_pk_mul_f32 v[254:255], v[122:123], s[52:53] op_sel_hi:[1,0]
	v_pk_mul_f32 v[122:123], v[122:123], s[44:45] op_sel_hi:[1,0]
	v_pk_fma_f32 v[10:11], v[116:117], s[20:21], v[254:255] op_sel:[0,0,1] op_sel_hi:[1,0,0]
	v_pk_fma_f32 v[254:255], v[116:117], s[20:21], v[254:255] op_sel:[0,0,1] op_sel_hi:[1,0,0] neg_lo:[0,0,1] neg_hi:[0,0,1]
	v_mov_b32_e32 v0, v10
	;; [unrolled: 7-line block ×6, first 2 shown]
	v_mov_b32_e32 v5, v3
	v_pk_add_f32 v[0:1], v[4:5], v[0:1]
	ds_write2_b64 v20, v[210:211], v[0:1] offset0:6 offset1:7
	v_pk_mul_f32 v[0:1], v[134:135], s[34:35] op_sel_hi:[1,0]
	v_mov_b32_e32 v251, v253
	v_pk_fma_f32 v[4:5], v[132:133], s[30:31], v[0:1] op_sel:[0,0,1] op_sel_hi:[1,0,0]
	v_pk_fma_f32 v[0:1], v[132:133], s[30:31], v[0:1] op_sel:[0,0,1] op_sel_hi:[1,0,0] neg_lo:[0,0,1] neg_hi:[0,0,1]
	v_pk_fma_f32 v[132:133], v[128:129], s[14:15], v[130:131] op_sel:[0,0,1] op_sel_hi:[1,0,0]
	v_pk_fma_f32 v[128:129], v[128:129], s[14:15], v[130:131] op_sel:[0,0,1] op_sel_hi:[1,0,0] neg_lo:[0,0,1] neg_hi:[0,0,1]
	v_mov_b32_e32 v130, v4
	v_mov_b32_e32 v131, v1
	v_pk_add_f32 v[130:131], v[38:39], v[130:131]
	v_mov_b32_e32 v134, v132
	v_mov_b32_e32 v135, v129
	v_pk_add_f32 v[130:131], v[134:135], v[130:131]
	v_pk_fma_f32 v[134:135], v[124:125], s[26:27], v[126:127] op_sel:[0,0,1] op_sel_hi:[1,0,0]
	v_pk_fma_f32 v[124:125], v[124:125], s[26:27], v[126:127] op_sel:[0,0,1] op_sel_hi:[1,0,0] neg_lo:[0,0,1] neg_hi:[0,0,1]
	v_mov_b32_e32 v126, v134
	v_mov_b32_e32 v127, v125
	v_pk_add_f32 v[126:127], v[126:127], v[130:131]
	v_pk_fma_f32 v[130:131], v[116:117], s[12:13], v[122:123] op_sel:[0,0,1] op_sel_hi:[1,0,0]
	v_pk_fma_f32 v[116:117], v[116:117], s[12:13], v[122:123] op_sel:[0,0,1] op_sel_hi:[1,0,0] neg_lo:[0,0,1] neg_hi:[0,0,1]
	;; [unrolled: 5-line block ×3, first 2 shown]
	v_mov_b32_e32 v1, v5
	v_mov_b32_e32 v114, v126
	;; [unrolled: 1-line block ×4, first 2 shown]
	v_pk_add_f32 v[0:1], v[38:39], v[0:1]
	v_pk_add_f32 v[114:115], v[114:115], v[122:123]
	v_pk_fma_f32 v[122:123], v[96:97], s[10:11], v[102:103] op_sel:[0,0,1] op_sel_hi:[1,0,0]
	v_pk_fma_f32 v[96:97], v[96:97], s[10:11], v[102:103] op_sel:[0,0,1] op_sel_hi:[1,0,0] neg_lo:[0,0,1] neg_hi:[0,0,1]
	v_pk_add_f32 v[0:1], v[128:129], v[0:1]
	v_mov_b32_e32 v125, v135
	v_mov_b32_e32 v102, v122
	v_mov_b32_e32 v103, v97
	v_pk_add_f32 v[0:1], v[124:125], v[0:1]
	v_mov_b32_e32 v117, v131
	v_pk_add_f32 v[102:103], v[102:103], v[114:115]
	v_pk_fma_f32 v[114:115], v[92:93], s[16:17], v[94:95] op_sel:[0,0,1] op_sel_hi:[1,0,0]
	v_pk_fma_f32 v[92:93], v[92:93], s[16:17], v[94:95] op_sel:[0,0,1] op_sel_hi:[1,0,0] neg_lo:[0,0,1] neg_hi:[0,0,1]
	v_pk_add_f32 v[0:1], v[116:117], v[0:1]
	v_mov_b32_e32 v109, v127
	v_mov_b32_e32 v94, v114
	v_mov_b32_e32 v95, v93
	v_pk_add_f32 v[0:1], v[108:109], v[0:1]
	v_mov_b32_e32 v97, v123
	;; [unrolled: 9-line block ×3, first 2 shown]
	v_pk_add_f32 v[86:87], v[86:87], v[94:95]
	v_pk_add_f32 v[0:1], v[80:81], v[0:1]
	ds_write2_b64 v20, v[86:87], v[0:1] offset0:8 offset1:9
	v_pk_add_f32 v[0:1], v[38:39], v[240:241]
	v_mov_b32_e32 v255, v11
	v_pk_add_f32 v[0:1], v[246:247], v[0:1]
	v_mov_b32_e32 v245, v79
	;; [unrolled: 2-line block ×7, first 2 shown]
	v_pk_add_f32 v[0:1], v[2:3], v[0:1]
	v_pk_add_f32 v[2:3], v[38:39], v[206:207]
	v_mov_b32_e32 v159, v157
	v_pk_add_f32 v[2:3], v[212:213], v[2:3]
	v_mov_b32_e32 v195, v193
	;; [unrolled: 2-line block ×7, first 2 shown]
	v_pk_add_f32 v[2:3], v[236:237], v[2:3]
	ds_write2_b64 v20, v[0:1], v[2:3] offset0:10 offset1:11
	v_pk_add_f32 v[0:1], v[38:39], v[168:169]
	v_pk_add_f32 v[2:3], v[38:39], v[136:137]
	;; [unrolled: 1-line block ×16, first 2 shown]
	ds_write2_b64 v20, v[0:1], v[2:3] offset0:12 offset1:13
	v_mov_b32_e32 v77, v29
	v_pk_add_f32 v[0:1], v[38:39], v[72:73]
	v_mov_b32_e32 v45, v43
	v_pk_add_f32 v[2:3], v[38:39], v[40:41]
	v_pk_add_f32 v[0:1], v[76:77], v[0:1]
	v_mov_b32_e32 v85, v83
	v_pk_add_f32 v[2:3], v[44:45], v[2:3]
	v_mov_b32_e32 v51, v49
	;; [unrolled: 2-line block ×12, first 2 shown]
	v_pk_add_f32 v[0:1], v[120:121], v[0:1]
	v_pk_add_f32 v[2:3], v[70:71], v[2:3]
	v_accvgpr_read_b32 v215, a1
	ds_write2_b64 v20, v[0:1], v[2:3] offset0:14 offset1:15
	v_pk_add_f32 v[0:1], v[38:39], v[214:215]
	v_accvgpr_read_b32 v175, a3
	v_pk_add_f32 v[0:1], v[174:175], v[0:1]
	v_accvgpr_read_b32 v47, a5
	v_mov_b32_e32 v59, v15
	v_pk_add_f32 v[0:1], v[46:47], v[0:1]
	v_accvgpr_read_b32 v15, a7
	v_mov_b32_e32 v65, v19
	v_pk_add_f32 v[0:1], v[14:15], v[0:1]
	v_accvgpr_read_b32 v19, a9
	v_pk_add_f32 v[0:1], v[18:19], v[0:1]
	v_mov_b32_e32 v23, v21
	v_pk_add_f32 v[0:1], v[22:23], v[0:1]
	v_accvgpr_read_b32 v27, a11
	v_pk_add_f32 v[0:1], v[26:27], v[0:1]
	v_accvgpr_read_b32 v31, a13
	v_pk_add_f32 v[0:1], v[30:31], v[0:1]
	ds_write_b64 v20, v[0:1] offset:128
.LBB0_14:
	s_or_b64 exec, exec, s[4:5]
	v_subrev_u32_e32 v0, 17, v36
	v_cmp_gt_u32_e64 s[0:1], 17, v36
	v_add_u16_e32 v4, 34, v36
	v_mov_b32_e32 v1, 0
	v_cndmask_b32_e64 v0, v0, v36, s[0:1]
	s_movk_i32 s0, 0xf1
	v_mul_lo_u16_sdwa v5, v4, s0 dst_sel:DWORD dst_unused:UNUSED_PAD src0_sel:BYTE_0 src1_sel:DWORD
	v_lshrrev_b16_e32 v38, 12, v5
	v_mul_lo_u16_e32 v5, 17, v38
	v_sub_u16_e32 v4, v4, v5
	v_add_u16_e32 v5, 0x44, v36
	v_mul_lo_u16_sdwa v6, v5, s0 dst_sel:DWORD dst_unused:UNUSED_PAD src0_sel:BYTE_0 src1_sel:DWORD
	v_lshrrev_b16_e32 v39, 12, v6
	v_mul_lo_u16_e32 v6, 17, v39
	v_sub_u16_e32 v5, v5, v6
	v_add_u16_e32 v6, 0x66, v36
	;; [unrolled: 5-line block ×3, first 2 shown]
	v_mul_lo_u16_sdwa v8, v7, s0 dst_sel:DWORD dst_unused:UNUSED_PAD src0_sel:BYTE_0 src1_sel:DWORD
	v_lshrrev_b16_e32 v41, 12, v8
	v_mul_lo_u16_e32 v8, 17, v41
	v_sub_u16_e32 v7, v7, v8
	v_mov_b32_e32 v8, 3
	v_lshlrev_b32_sdwa v45, v8, v7 dst_sel:DWORD dst_unused:UNUSED_PAD src0_sel:DWORD src1_sel:BYTE_0
	s_load_dwordx2 s[2:3], s[2:3], 0x0
	s_waitcnt lgkmcnt(0)
	s_barrier
	v_lshl_add_u64 v[2:3], v[0:1], 3, s[8:9]
	v_lshlrev_b32_sdwa v42, v8, v4 dst_sel:DWORD dst_unused:UNUSED_PAD src0_sel:DWORD src1_sel:BYTE_0
	v_lshlrev_b32_sdwa v43, v8, v5 dst_sel:DWORD dst_unused:UNUSED_PAD src0_sel:DWORD src1_sel:BYTE_0
	;; [unrolled: 1-line block ×3, first 2 shown]
	global_load_dwordx2 v[18:19], v45, s[8:9]
	global_load_dwordx2 v[20:21], v44, s[8:9]
	;; [unrolled: 1-line block ×4, first 2 shown]
	global_load_dwordx2 v[26:27], v[2:3], off
	ds_read2_b64 v[2:5], v202 offset0:170 offset1:204
	v_add_u32_e32 v50, 0x400, v202
	ds_read2_b64 v[6:9], v202 offset0:102 offset1:136
	ds_read2_b64 v[10:13], v202 offset0:34 offset1:68
	ds_read_b64 v[28:29], v202 offset:2448
	ds_read_b64 v[30:31], v203
	ds_read2_b64 v[14:17], v50 offset0:110 offset1:144
	v_mov_b32_e32 v46, 0x110
	v_cmp_lt_u32_e64 s[0:1], 16, v36
	s_movk_i32 s4, 0x110
	v_lshlrev_b32_e32 v0, 3, v0
	v_cndmask_b32_e64 v46, 0, v46, s[0:1]
	v_add_u32_e32 v46, 0, v46
	v_mad_u32_u24 v38, v38, s4, 0
	v_mad_u32_u24 v39, v39, s4, 0
	;; [unrolled: 1-line block ×4, first 2 shown]
	v_add3_u32 v0, v46, v0, v37
	v_add3_u32 v51, v38, v42, v37
	;; [unrolled: 1-line block ×5, first 2 shown]
	s_waitcnt lgkmcnt(0)
	s_barrier
	s_mov_b32 s0, 0x3e9e377a
	s_mov_b32 s1, 0x3f167918
	;; [unrolled: 1-line block ×8, first 2 shown]
	s_waitcnt vmcnt(4)
	v_pk_mul_f32 v[38:39], v[18:19], v[28:29] op_sel:[0,1]
	s_waitcnt vmcnt(3)
	v_pk_mul_f32 v[40:41], v[20:21], v[16:17] op_sel:[0,1]
	;; [unrolled: 2-line block ×5, first 2 shown]
	v_pk_fma_f32 v[48:49], v[18:19], v[28:29], v[38:39] op_sel:[0,0,1] op_sel_hi:[1,1,0]
	v_pk_fma_f32 v[18:19], v[18:19], v[28:29], v[38:39] op_sel:[0,0,1] op_sel_hi:[1,0,0] neg_lo:[1,0,0] neg_hi:[1,0,0]
	v_pk_fma_f32 v[28:29], v[20:21], v[16:17], v[40:41] op_sel:[0,0,1] op_sel_hi:[1,1,0]
	v_pk_fma_f32 v[16:17], v[20:21], v[16:17], v[40:41] op_sel:[0,0,1] op_sel_hi:[1,0,0] neg_lo:[1,0,0] neg_hi:[1,0,0]
	;; [unrolled: 2-line block ×5, first 2 shown]
	v_mov_b32_e32 v49, v19
	v_mov_b32_e32 v25, v3
	;; [unrolled: 1-line block ×5, first 2 shown]
	v_pk_add_f32 v[18:19], v[30:31], v[24:25] neg_lo:[0,1] neg_hi:[0,1]
	v_pk_add_f32 v[2:3], v[8:9], v[48:49] neg_lo:[0,1] neg_hi:[0,1]
	;; [unrolled: 1-line block ×5, first 2 shown]
	v_pk_fma_f32 v[20:21], v[30:31], 2.0, v[18:19] op_sel_hi:[1,0,1] neg_lo:[0,0,1] neg_hi:[0,0,1]
	v_pk_fma_f32 v[8:9], v[8:9], 2.0, v[2:3] op_sel_hi:[1,0,1] neg_lo:[0,0,1] neg_hi:[0,0,1]
	;; [unrolled: 1-line block ×5, first 2 shown]
	ds_write2_b64 v0, v[20:21], v[18:19] offset1:17
	ds_write2_b64 v51, v[10:11], v[16:17] offset1:17
	;; [unrolled: 1-line block ×5, first 2 shown]
	v_mul_u32_u24_e32 v0, 9, v36
	v_lshlrev_b32_e32 v0, 3, v0
	s_waitcnt lgkmcnt(0)
	s_barrier
	global_load_dwordx4 v[2:5], v0, s[8:9] offset:136
	global_load_dwordx4 v[6:9], v0, s[8:9] offset:152
	;; [unrolled: 1-line block ×4, first 2 shown]
	global_load_dwordx2 v[30:31], v0, s[8:9] offset:200
	ds_read2_b64 v[18:21], v202 offset0:34 offset1:68
	ds_read2_b64 v[22:25], v202 offset0:102 offset1:136
	;; [unrolled: 1-line block ×4, first 2 shown]
	ds_read_b64 v[42:43], v203
	ds_read_b64 v[44:45], v202 offset:2448
	s_waitcnt lgkmcnt(0)
	s_barrier
	s_waitcnt vmcnt(4)
	v_pk_mul_f32 v[46:47], v[2:3], v[18:19] op_sel:[0,1]
	v_pk_mul_f32 v[48:49], v[4:5], v[20:21] op_sel:[0,1]
	s_waitcnt vmcnt(3)
	v_pk_mul_f32 v[50:51], v[6:7], v[22:23] op_sel:[0,1]
	v_pk_mul_f32 v[52:53], v[8:9], v[24:25] op_sel:[0,1]
	s_waitcnt vmcnt(2)
	v_pk_mul_f32 v[54:55], v[10:11], v[26:27] op_sel:[0,1]
	v_mov_b32_e32 v0, v13
	s_waitcnt vmcnt(1)
	v_pk_mul_f32 v[56:57], v[38:39], v[14:15] op_sel:[0,1]
	s_waitcnt vmcnt(0)
	v_pk_mul_f32 v[60:61], v[44:45], v[30:31] op_sel:[0,1]
	v_pk_fma_f32 v[62:63], v[2:3], v[18:19], v[46:47] op_sel:[0,0,1] op_sel_hi:[1,0,0]
	v_pk_fma_f32 v[2:3], v[2:3], v[18:19], v[46:47] op_sel:[0,0,1] op_sel_hi:[1,0,0] neg_lo:[1,0,0] neg_hi:[1,0,0]
	v_pk_fma_f32 v[18:19], v[4:5], v[20:21], v[48:49] op_sel:[0,0,1] op_sel_hi:[1,1,0]
	v_pk_fma_f32 v[4:5], v[4:5], v[20:21], v[48:49] op_sel:[0,0,1] op_sel_hi:[1,0,0] neg_lo:[1,0,0] neg_hi:[1,0,0]
	;; [unrolled: 2-line block ×5, first 2 shown]
	v_pk_mul_f32 v[26:27], v[28:29], v[0:1] op_sel_hi:[1,0]
	v_pk_fma_f32 v[46:47], v[38:39], v[14:15], v[56:57] op_sel:[0,0,1] op_sel_hi:[1,1,0]
	v_pk_fma_f32 v[48:49], v[44:45], v[30:31], v[60:61] op_sel:[0,0,1] op_sel_hi:[1,1,0]
	v_mov_b32_e32 v58, v17
	v_mov_b32_e32 v19, v5
	;; [unrolled: 1-line block ×3, first 2 shown]
	v_pk_fma_f32 v[4:5], v[28:29], v[12:13], v[26:27] op_sel:[0,0,1] op_sel_hi:[1,1,0]
	v_pk_fma_f32 v[8:9], v[28:29], v[12:13], v[26:27] op_sel:[0,0,1] op_sel_hi:[1,0,0] neg_lo:[0,0,1] neg_hi:[0,0,1]
	v_mov_b32_e32 v26, v20
	v_mov_b32_e32 v27, v48
	;; [unrolled: 1-line block ×4, first 2 shown]
	v_pk_fma_f32 v[14:15], v[38:39], v[14:15], v[56:57] op_sel:[0,0,1] op_sel_hi:[1,0,0] neg_lo:[0,0,1] neg_hi:[0,0,1]
	v_pk_mul_f32 v[38:39], v[40:41], v[58:59] op_sel_hi:[1,0]
	v_pk_fma_f32 v[30:31], v[44:45], v[30:31], v[60:61] op_sel:[0,0,1] op_sel_hi:[1,0,0] neg_lo:[0,0,1] neg_hi:[0,0,1]
	v_pk_add_f32 v[44:45], v[26:27], v[28:29] neg_lo:[0,1] neg_hi:[0,1]
	v_mov_b32_e32 v25, v11
	v_mov_b32_e32 v47, v15
	v_pk_fma_f32 v[12:13], v[40:41], v[16:17], v[38:39] op_sel:[0,0,1] op_sel_hi:[1,1,0]
	v_pk_fma_f32 v[16:17], v[40:41], v[16:17], v[38:39] op_sel:[0,0,1] op_sel_hi:[1,0,0] neg_lo:[0,0,1] neg_hi:[0,0,1]
	v_mov_b32_e32 v0, v45
	v_mov_b32_e32 v21, v7
	;; [unrolled: 1-line block ×4, first 2 shown]
	v_pk_add_f32 v[16:17], v[24:25], v[46:47]
	v_pk_add_f32 v[40:41], v[24:25], v[46:47] neg_lo:[0,1] neg_hi:[0,1]
	v_pk_add_f32 v[44:45], v[44:45], v[0:1]
	v_pk_add_f32 v[38:39], v[20:21], v[48:49] neg_lo:[0,1] neg_hi:[0,1]
	v_fma_f32 v2, -0.5, v16, v62
	v_mov_b32_e32 v45, v41
	v_fmamk_f32 v6, v39, 0xbf737871, v2
	v_pk_mul_f32 v[44:45], v[44:45], s[0:1]
	v_pk_add_f32 v[26:27], v[28:29], v[26:27] neg_lo:[0,1] neg_hi:[0,1]
	v_sub_f32_e32 v0, v6, v45
	v_mov_b32_e32 v6, v27
	v_pk_add_f32 v[50:51], v[20:21], v[48:49]
	v_mov_b32_e32 v10, v62
	v_pk_add_f32 v[26:27], v[26:27], v[6:7]
	v_fmac_f32_e32 v10, -0.5, v50
	v_mov_b32_e32 v27, v39
	v_mov_b32_e32 v63, v3
	v_fmamk_f32 v14, v41, 0x3f737871, v10
	v_pk_mul_f32 v[26:27], v[26:27], s[0:1]
	v_pk_add_f32 v[20:21], v[62:63], v[20:21]
	v_sub_f32_e32 v6, v14, v27
	v_mov_b32_e32 v30, v7
	v_mov_b32_e32 v14, v11
	v_pk_add_f32 v[20:21], v[20:21], v[24:25]
	v_fma_f32 v25, -0.5, v17, v3
	v_pk_add_f32 v[16:17], v[30:31], v[14:15] neg_lo:[0,1] neg_hi:[0,1]
	v_fmac_f32_e32 v10, 0xbf737871, v41
	v_mov_b32_e32 v24, v17
	v_pk_add_f32 v[16:17], v[16:17], v[24:25]
	v_add_f32_e32 v10, v27, v10
	v_mov_b32_e32 v17, v40
	v_add_f32_e32 v6, v26, v6
	v_add_f32_e32 v10, v26, v10
	v_fmamk_f32 v26, v38, 0x3f737871, v25
	v_pk_mul_f32 v[16:17], v[16:17], s[0:1]
	v_pk_add_f32 v[14:15], v[14:15], v[30:31] neg_lo:[0,1] neg_hi:[0,1]
	v_add_f32_e32 v7, v17, v26
	v_mov_b32_e32 v26, v15
	v_mov_b32_e32 v5, v9
	v_fmac_f32_e32 v2, 0x3f737871, v39
	v_fmac_f32_e32 v25, 0xbf737871, v38
	v_pk_add_f32 v[14:15], v[14:15], v[26:27]
	v_add_f32_e32 v2, v45, v2
	v_pk_add_f32 v[20:21], v[20:21], v[46:47]
	v_add_f32_e32 v24, v16, v7
	v_sub_f32_e32 v7, v25, v17
	v_fmac_f32_e32 v3, -0.5, v51
	v_mov_b32_e32 v15, v38
	v_pk_add_f32 v[30:31], v[22:23], v[4:5]
	v_pk_add_f32 v[38:39], v[18:19], v[12:13] neg_lo:[0,1] neg_hi:[0,1]
	v_add_f32_e32 v0, v44, v0
	v_add_f32_e32 v2, v44, v2
	v_pk_add_f32 v[20:21], v[20:21], v[48:49]
	v_add_f32_e32 v16, v16, v7
	v_fmamk_f32 v7, v40, 0xbf737871, v3
	v_fmac_f32_e32 v3, 0x3f737871, v40
	v_pk_fma_f32 v[30:31], v[30:31], 0.5, v[42:43] op_sel_hi:[1,0,1] neg_lo:[1,0,0] neg_hi:[1,0,0]
	v_pk_mul_f32 v[40:41], v[38:39], s[4:5] op_sel_hi:[1,0]
	v_pk_add_f32 v[44:45], v[22:23], v[4:5] neg_lo:[0,1] neg_hi:[0,1]
	v_pk_add_f32 v[48:49], v[18:19], v[22:23] neg_lo:[0,1] neg_hi:[0,1]
	v_pk_add_f32 v[50:51], v[12:13], v[4:5] neg_lo:[0,1] neg_hi:[0,1]
	v_pk_add_f32 v[8:9], v[42:43], v[18:19]
	v_pk_mul_f32 v[46:47], v[44:45], s[10:11] op_sel_hi:[1,0]
	v_pk_add_f32 v[48:49], v[48:49], v[50:51]
	v_pk_add_f32 v[50:51], v[30:31], v[40:41] op_sel:[0,1] op_sel_hi:[1,0] neg_lo:[0,1] neg_hi:[0,1]
	v_pk_add_f32 v[30:31], v[30:31], v[40:41] op_sel:[0,1] op_sel_hi:[1,0]
	v_pk_add_f32 v[8:9], v[8:9], v[22:23]
	v_pk_add_f32 v[30:31], v[30:31], v[46:47] op_sel:[0,1] op_sel_hi:[1,0]
	v_pk_add_f32 v[40:41], v[50:51], v[46:47] op_sel:[0,1] op_sel_hi:[1,0] neg_lo:[0,1] neg_hi:[0,1]
	v_pk_mul_f32 v[24:25], v[24:25], s[14:15] op_sel_hi:[0,1]
	v_pk_add_f32 v[8:9], v[8:9], v[4:5]
	v_pk_mul_f32 v[14:15], v[14:15], s[0:1]
	v_mov_b32_e32 v46, v40
	v_mov_b32_e32 v47, v31
	v_pk_fma_f32 v[50:51], v[0:1], s[12:13], v[24:25] neg_lo:[0,0,1] neg_hi:[0,0,1]
	v_pk_fma_f32 v[24:25], v[0:1], s[12:13], v[24:25] op_sel_hi:[0,1,1]
	v_pk_add_f32 v[8:9], v[8:9], v[12:13]
	v_add_f32_e32 v7, v15, v7
	v_pk_fma_f32 v[46:47], v[48:49], s[0:1], v[46:47] op_sel_hi:[1,0,1]
	v_mov_b32_e32 v51, v25
	v_add_f32_e32 v26, v14, v7
	v_pk_add_f32 v[28:29], v[8:9], v[20:21]
	v_pk_add_f32 v[24:25], v[46:47], v[50:51]
	s_mov_b32 s5, s0
	ds_write2_b64 v202, v[28:29], v[24:25] offset1:34
	v_pk_add_f32 v[24:25], v[18:19], v[12:13]
	v_pk_add_f32 v[18:19], v[22:23], v[18:19] neg_lo:[0,1] neg_hi:[0,1]
	v_pk_add_f32 v[4:5], v[4:5], v[12:13] neg_lo:[0,1] neg_hi:[0,1]
	s_mov_b32 s12, s0
	s_mov_b32 s13, s4
	v_pk_mul_f32 v[12:13], v[26:27], s[4:5] op_sel_hi:[0,1]
	v_pk_add_f32 v[4:5], v[18:19], v[4:5]
	v_pk_fma_f32 v[18:19], v[6:7], s[12:13], v[12:13] neg_lo:[0,0,1] neg_hi:[0,0,1]
	v_pk_fma_f32 v[6:7], v[6:7], s[12:13], v[12:13] op_sel_hi:[0,1,1]
	v_pk_fma_f32 v[24:25], v[24:25], 0.5, v[42:43] op_sel_hi:[1,0,1] neg_lo:[1,0,0] neg_hi:[1,0,0]
	v_mov_b32_e32 v19, v7
	v_pk_mul_f32 v[6:7], v[44:45], s[4:5] op_sel_hi:[1,0]
	v_sub_f32_e32 v3, v3, v15
	v_pk_mul_f32 v[12:13], v[38:39], s[10:11] op_sel_hi:[1,0]
	v_pk_add_f32 v[22:23], v[24:25], v[6:7] op_sel:[0,1] op_sel_hi:[1,0]
	v_pk_add_f32 v[6:7], v[24:25], v[6:7] op_sel:[0,1] op_sel_hi:[1,0] neg_lo:[0,1] neg_hi:[0,1]
	v_add_f32_e32 v14, v14, v3
	v_pk_add_f32 v[6:7], v[6:7], v[12:13] op_sel:[0,1] op_sel_hi:[1,0]
	v_pk_add_f32 v[12:13], v[22:23], v[12:13] op_sel:[0,1] op_sel_hi:[1,0] neg_lo:[0,1] neg_hi:[0,1]
	v_mov_b32_e32 v23, v7
	v_mov_b32_e32 v22, v12
	s_mov_b32 s10, 0xbe9e377a
	s_mov_b32 s11, s4
	v_pk_mul_f32 v[14:15], v[14:15], s[4:5] op_sel_hi:[0,1]
	v_mov_b32_e32 v7, v13
	v_pk_fma_f32 v[22:23], v[4:5], s[0:1], v[22:23] op_sel_hi:[1,0,1]
	v_pk_fma_f32 v[10:11], v[10:11], s[10:11], v[14:15] op_sel_hi:[0,1,1] neg_lo:[0,0,1] neg_hi:[0,0,1]
	v_pk_fma_f32 v[4:5], v[4:5], s[0:1], v[6:7] op_sel_hi:[1,0,1]
	v_pk_add_f32 v[24:25], v[22:23], v[18:19]
	v_pk_add_f32 v[6:7], v[4:5], v[10:11]
	ds_write2_b64 v202, v[24:25], v[6:7] offset0:68 offset1:102
	s_mov_b32 s4, 0xbf4f1bbd
	s_mov_b32 s5, s1
	v_pk_mul_f32 v[6:7], v[16:17], s[14:15] op_sel_hi:[0,1]
	v_mov_b32_e32 v31, v41
	v_pk_fma_f32 v[2:3], v[2:3], s[4:5], v[6:7] op_sel_hi:[0,1,1] neg_lo:[0,0,1] neg_hi:[0,0,1]
	v_pk_fma_f32 v[6:7], v[48:49], s[0:1], v[30:31] op_sel_hi:[1,0,1]
	v_pk_add_f32 v[8:9], v[8:9], v[20:21] neg_lo:[0,1] neg_hi:[0,1]
	v_pk_add_f32 v[12:13], v[6:7], v[2:3]
	ds_write2_b64 v202, v[12:13], v[8:9] offset0:136 offset1:170
	v_pk_add_f32 v[8:9], v[46:47], v[50:51] neg_lo:[0,1] neg_hi:[0,1]
	v_pk_add_f32 v[12:13], v[22:23], v[18:19] neg_lo:[0,1] neg_hi:[0,1]
	;; [unrolled: 1-line block ×4, first 2 shown]
	ds_write2_b64 v202, v[8:9], v[12:13] offset0:204 offset1:238
	ds_write2_b64 v65, v[4:5], v[2:3] offset0:16 offset1:50
	s_waitcnt lgkmcnt(0)
	s_barrier
	ds_read_b64 v[6:7], v203
	v_sub_u32_e32 v0, v59, v64
	v_cmp_ne_u32_e64 s[0:1], 0, v36
                                        ; implicit-def: $vgpr3
                                        ; implicit-def: $vgpr4_vgpr5
                                        ; implicit-def: $vgpr8_vgpr9
	s_and_saveexec_b64 s[4:5], s[0:1]
	s_xor_b64 s[0:1], exec, s[4:5]
	s_cbranch_execz .LBB0_16
; %bb.15:
	v_mov_b32_e32 v37, v1
	v_lshl_add_u64 v[2:3], v[36:37], 3, s[8:9]
	global_load_dwordx2 v[4:5], v[2:3], off offset:2584
	ds_read_b64 v[2:3], v0 offset:2720
	v_mov_b32_e32 v9, 0.5
	v_mov_b32_e32 v10, v9
	s_waitcnt lgkmcnt(0)
	v_pk_add_f32 v[12:13], v[2:3], v[6:7]
	v_pk_add_f32 v[2:3], v[6:7], v[2:3] neg_lo:[0,1] neg_hi:[0,1]
	v_mov_b32_e32 v6, v13
	v_mov_b32_e32 v7, v2
	v_pk_mul_f32 v[6:7], v[6:7], 0.5 op_sel_hi:[1,0]
	s_waitcnt vmcnt(0)
	v_mov_b32_e32 v8, v5
	v_mov_b32_e32 v2, v7
	;; [unrolled: 1-line block ×4, first 2 shown]
	v_pk_mul_f32 v[2:3], v[8:9], v[2:3]
	v_pk_mul_f32 v[14:15], v[4:5], v[6:7] op_sel_hi:[0,1]
	v_pk_fma_f32 v[8:9], v[12:13], v[10:11], v[2:3]
	v_pk_fma_f32 v[10:11], v[12:13], v[10:11], v[2:3] neg_lo:[0,0,1] neg_hi:[0,0,1]
	v_pk_fma_f32 v[2:3], v[4:5], v[6:7], v[8:9] op_sel_hi:[0,1,1] neg_lo:[1,0,0] neg_hi:[1,0,0]
	v_pk_fma_f32 v[4:5], v[4:5], v[6:7], v[10:11] op_sel_hi:[0,1,1] neg_lo:[1,0,0] neg_hi:[1,0,0]
	v_add_f32_e32 v2, v8, v14
	v_mov_b64_e32 v[8:9], v[36:37]
                                        ; implicit-def: $vgpr6_vgpr7
.LBB0_16:
	s_andn2_saveexec_b64 s[0:1], s[0:1]
	s_cbranch_execz .LBB0_18
; %bb.17:
	ds_read_b32 v1, v59 offset:1364
	s_waitcnt lgkmcnt(1)
	v_mov_b32_e32 v4, v7
	v_pk_add_f32 v[4:5], v[6:7], v[4:5] neg_lo:[0,1] neg_hi:[0,1]
	v_add_f32_e32 v2, v7, v6
	v_mov_b32_e32 v5, 0
	s_waitcnt lgkmcnt(0)
	v_xor_b32_e32 v1, 0x80000000, v1
	v_mov_b64_e32 v[8:9], 0
	v_mov_b32_e32 v3, v5
	ds_write_b32 v59, v1 offset:1364
.LBB0_18:
	s_or_b64 exec, exec, s[0:1]
	s_add_u32 s0, s8, 0xa18
	s_addc_u32 s1, s9, 0
	s_waitcnt lgkmcnt(0)
	v_lshl_add_u64 v[6:7], v[8:9], 3, s[0:1]
	global_load_dwordx2 v[8:9], v[6:7], off offset:272
	global_load_dwordx2 v[10:11], v[6:7], off offset:544
	;; [unrolled: 1-line block ×4, first 2 shown]
	ds_write_b64 v203, v[2:3]
	ds_write_b64 v0, v[4:5] offset:2720
	ds_read_b64 v[2:3], v203 offset:272
	ds_read_b64 v[4:5], v0 offset:2448
	v_mov_b32_e32 v7, 0.5
	v_mov_b32_e32 v16, v7
	s_waitcnt lgkmcnt(0)
	v_pk_add_f32 v[18:19], v[2:3], v[4:5]
	v_pk_add_f32 v[2:3], v[2:3], v[4:5] neg_lo:[0,1] neg_hi:[0,1]
	v_mov_b32_e32 v4, v19
	v_mov_b32_e32 v5, v2
	v_pk_mul_f32 v[4:5], v[4:5], 0.5 op_sel_hi:[1,0]
	s_waitcnt vmcnt(3)
	v_mov_b32_e32 v17, v9
	v_mov_b32_e32 v19, v4
	;; [unrolled: 1-line block ×4, first 2 shown]
	v_pk_mul_f32 v[16:17], v[18:19], v[16:17]
	s_nop 0
	v_pk_fma_f32 v[18:19], v[6:7], v[2:3], v[16:17] neg_lo:[1,0,0] neg_hi:[1,0,0]
	v_pk_fma_f32 v[2:3], v[6:7], v[2:3], v[16:17]
	v_pk_fma_f32 v[16:17], v[8:9], v[4:5], v[18:19] op_sel_hi:[0,1,1] neg_lo:[1,0,0] neg_hi:[1,0,0]
	v_pk_fma_f32 v[18:19], v[8:9], v[4:5], v[2:3] op_sel_hi:[0,1,1]
	v_pk_fma_f32 v[2:3], v[8:9], v[4:5], v[2:3] op_sel_hi:[0,1,1] neg_lo:[1,0,0] neg_hi:[1,0,0]
	v_mov_b32_e32 v19, v3
	ds_write_b64 v203, v[18:19] offset:272
	ds_write_b64 v0, v[16:17] offset:2448
	ds_read_b64 v[2:3], v203 offset:544
	ds_read_b64 v[4:5], v0 offset:2176
	v_mov_b32_e32 v8, v7
	s_waitcnt vmcnt(2)
	v_mov_b32_e32 v9, v11
	v_mov_b32_e32 v6, v11
	s_waitcnt lgkmcnt(0)
	v_pk_add_f32 v[16:17], v[2:3], v[4:5]
	v_pk_add_f32 v[2:3], v[2:3], v[4:5] neg_lo:[0,1] neg_hi:[0,1]
	v_mov_b32_e32 v4, v17
	v_mov_b32_e32 v5, v2
	v_pk_mul_f32 v[4:5], v[4:5], 0.5 op_sel_hi:[1,0]
	s_nop 0
	v_mov_b32_e32 v17, v4
	v_mov_b32_e32 v2, v5
	v_pk_mul_f32 v[8:9], v[16:17], v[8:9]
	s_nop 0
	v_pk_fma_f32 v[16:17], v[6:7], v[2:3], v[8:9] neg_lo:[1,0,0] neg_hi:[1,0,0]
	v_pk_fma_f32 v[2:3], v[6:7], v[2:3], v[8:9]
	v_pk_fma_f32 v[8:9], v[10:11], v[4:5], v[16:17] op_sel_hi:[0,1,1] neg_lo:[1,0,0] neg_hi:[1,0,0]
	v_pk_fma_f32 v[16:17], v[10:11], v[4:5], v[2:3] op_sel_hi:[0,1,1]
	v_pk_fma_f32 v[2:3], v[10:11], v[4:5], v[2:3] op_sel_hi:[0,1,1] neg_lo:[1,0,0] neg_hi:[1,0,0]
	v_mov_b32_e32 v17, v3
	ds_write_b64 v203, v[16:17] offset:544
	ds_write_b64 v0, v[8:9] offset:2176
	ds_read_b64 v[2:3], v203 offset:816
	ds_read_b64 v[4:5], v0 offset:1904
	v_mov_b32_e32 v8, v7
	s_waitcnt vmcnt(1)
	v_mov_b32_e32 v9, v13
	v_mov_b32_e32 v6, v13
	s_waitcnt lgkmcnt(0)
	v_pk_add_f32 v[10:11], v[2:3], v[4:5]
	v_pk_add_f32 v[2:3], v[2:3], v[4:5] neg_lo:[0,1] neg_hi:[0,1]
	v_mov_b32_e32 v4, v11
	v_mov_b32_e32 v5, v2
	v_pk_mul_f32 v[4:5], v[4:5], 0.5 op_sel_hi:[1,0]
	s_nop 0
	v_mov_b32_e32 v11, v4
	v_mov_b32_e32 v2, v5
	;; [unrolled: 25-line block ×3, first 2 shown]
	v_pk_mul_f32 v[8:9], v[10:11], v[8:9]
	s_nop 0
	v_pk_fma_f32 v[10:11], v[6:7], v[2:3], v[8:9] neg_lo:[1,0,0] neg_hi:[1,0,0]
	v_pk_fma_f32 v[2:3], v[6:7], v[2:3], v[8:9]
	v_pk_fma_f32 v[6:7], v[14:15], v[4:5], v[10:11] op_sel_hi:[0,1,1] neg_lo:[1,0,0] neg_hi:[1,0,0]
	v_pk_fma_f32 v[8:9], v[14:15], v[4:5], v[2:3] op_sel_hi:[0,1,1]
	v_pk_fma_f32 v[2:3], v[14:15], v[4:5], v[2:3] op_sel_hi:[0,1,1] neg_lo:[1,0,0] neg_hi:[1,0,0]
	v_mov_b32_e32 v9, v3
	ds_write_b64 v203, v[8:9] offset:1088
	ds_write_b64 v0, v[6:7] offset:1632
	s_waitcnt lgkmcnt(0)
	s_barrier
	s_and_saveexec_b64 s[0:1], vcc
	s_cbranch_execz .LBB0_21
; %bb.19:
	v_mul_lo_u32 v2, s3, v34
	v_mul_lo_u32 v3, s2, v35
	v_mad_u64_u32 v[0:1], s[0:1], s2, v34, 0
	v_add3_u32 v1, v1, v3, v2
	v_lshl_add_u32 v2, v36, 3, v59
	ds_read2_b64 v[4:7], v2 offset1:34
	v_lshl_add_u64 v[0:1], v[0:1], 3, s[6:7]
	v_mov_b32_e32 v37, 0
	v_lshl_add_u64 v[0:1], v[32:33], 3, v[0:1]
	v_lshl_add_u64 v[8:9], v[36:37], 3, v[0:1]
	s_waitcnt lgkmcnt(0)
	global_store_dwordx2 v[8:9], v[4:5], off
	ds_read2_b64 v[8:11], v2 offset0:68 offset1:102
	v_add_u32_e32 v4, 34, v36
	v_mov_b32_e32 v5, v37
	v_lshl_add_u64 v[4:5], v[4:5], 3, v[0:1]
	global_store_dwordx2 v[4:5], v[6:7], off
	v_add_u32_e32 v4, 0x44, v36
	v_mov_b32_e32 v5, v37
	v_lshl_add_u64 v[4:5], v[4:5], 3, v[0:1]
	s_waitcnt lgkmcnt(0)
	global_store_dwordx2 v[4:5], v[8:9], off
	v_add_u32_e32 v4, 0x66, v36
	v_mov_b32_e32 v5, v37
	v_lshl_add_u64 v[8:9], v[4:5], 3, v[0:1]
	ds_read2_b64 v[4:7], v2 offset0:136 offset1:170
	global_store_dwordx2 v[8:9], v[10:11], off
	v_add_u32_e32 v8, 0x88, v36
	v_mov_b32_e32 v9, v37
	v_lshl_add_u64 v[8:9], v[8:9], 3, v[0:1]
	s_waitcnt lgkmcnt(0)
	global_store_dwordx2 v[8:9], v[4:5], off
	ds_read2_b64 v[8:11], v2 offset0:204 offset1:238
	v_add_u32_e32 v4, 0xaa, v36
	v_mov_b32_e32 v5, v37
	v_lshl_add_u64 v[4:5], v[4:5], 3, v[0:1]
	global_store_dwordx2 v[4:5], v[6:7], off
	v_add_u32_e32 v4, 0xcc, v36
	v_mov_b32_e32 v5, v37
	v_lshl_add_u64 v[4:5], v[4:5], 3, v[0:1]
	s_waitcnt lgkmcnt(0)
	global_store_dwordx2 v[4:5], v[8:9], off
	v_add_u32_e32 v4, 0xee, v36
	v_mov_b32_e32 v5, v37
	v_add_u32_e32 v3, 0x800, v2
	v_lshl_add_u64 v[8:9], v[4:5], 3, v[0:1]
	ds_read2_b64 v[4:7], v3 offset0:16 offset1:50
	global_store_dwordx2 v[8:9], v[10:11], off
	v_add_u32_e32 v8, 0x110, v36
	v_mov_b32_e32 v9, v37
	v_lshl_add_u64 v[8:9], v[8:9], 3, v[0:1]
	s_waitcnt lgkmcnt(0)
	global_store_dwordx2 v[8:9], v[4:5], off
	v_add_u32_e32 v4, 0x132, v36
	v_mov_b32_e32 v5, v37
	v_lshl_add_u64 v[4:5], v[4:5], 3, v[0:1]
	v_cmp_eq_u32_e32 vcc, 33, v36
	global_store_dwordx2 v[4:5], v[6:7], off
	s_and_b64 exec, exec, vcc
	s_cbranch_execz .LBB0_21
; %bb.20:
	ds_read_b64 v[2:3], v2 offset:2456
	s_waitcnt lgkmcnt(0)
	global_store_dwordx2 v[0:1], v[2:3], off offset:2720
.LBB0_21:
	s_endpgm
	.section	.rodata,"a",@progbits
	.p2align	6, 0x0
	.amdhsa_kernel fft_rtc_back_len340_factors_17_2_10_wgs_102_tpt_34_halfLds_sp_op_CI_CI_unitstride_sbrr_R2C_dirReg
		.amdhsa_group_segment_fixed_size 0
		.amdhsa_private_segment_fixed_size 0
		.amdhsa_kernarg_size 104
		.amdhsa_user_sgpr_count 2
		.amdhsa_user_sgpr_dispatch_ptr 0
		.amdhsa_user_sgpr_queue_ptr 0
		.amdhsa_user_sgpr_kernarg_segment_ptr 1
		.amdhsa_user_sgpr_dispatch_id 0
		.amdhsa_user_sgpr_kernarg_preload_length 0
		.amdhsa_user_sgpr_kernarg_preload_offset 0
		.amdhsa_user_sgpr_private_segment_size 0
		.amdhsa_uses_dynamic_stack 0
		.amdhsa_enable_private_segment 0
		.amdhsa_system_sgpr_workgroup_id_x 1
		.amdhsa_system_sgpr_workgroup_id_y 0
		.amdhsa_system_sgpr_workgroup_id_z 0
		.amdhsa_system_sgpr_workgroup_info 0
		.amdhsa_system_vgpr_workitem_id 0
		.amdhsa_next_free_vgpr 270
		.amdhsa_next_free_sgpr 54
		.amdhsa_accum_offset 256
		.amdhsa_reserve_vcc 1
		.amdhsa_float_round_mode_32 0
		.amdhsa_float_round_mode_16_64 0
		.amdhsa_float_denorm_mode_32 3
		.amdhsa_float_denorm_mode_16_64 3
		.amdhsa_dx10_clamp 1
		.amdhsa_ieee_mode 1
		.amdhsa_fp16_overflow 0
		.amdhsa_tg_split 0
		.amdhsa_exception_fp_ieee_invalid_op 0
		.amdhsa_exception_fp_denorm_src 0
		.amdhsa_exception_fp_ieee_div_zero 0
		.amdhsa_exception_fp_ieee_overflow 0
		.amdhsa_exception_fp_ieee_underflow 0
		.amdhsa_exception_fp_ieee_inexact 0
		.amdhsa_exception_int_div_zero 0
	.end_amdhsa_kernel
	.text
.Lfunc_end0:
	.size	fft_rtc_back_len340_factors_17_2_10_wgs_102_tpt_34_halfLds_sp_op_CI_CI_unitstride_sbrr_R2C_dirReg, .Lfunc_end0-fft_rtc_back_len340_factors_17_2_10_wgs_102_tpt_34_halfLds_sp_op_CI_CI_unitstride_sbrr_R2C_dirReg
                                        ; -- End function
	.section	.AMDGPU.csdata,"",@progbits
; Kernel info:
; codeLenInByte = 9036
; NumSgprs: 60
; NumVgprs: 256
; NumAgprs: 14
; TotalNumVgprs: 270
; ScratchSize: 0
; MemoryBound: 0
; FloatMode: 240
; IeeeMode: 1
; LDSByteSize: 0 bytes/workgroup (compile time only)
; SGPRBlocks: 7
; VGPRBlocks: 33
; NumSGPRsForWavesPerEU: 60
; NumVGPRsForWavesPerEU: 270
; AccumOffset: 256
; Occupancy: 1
; WaveLimiterHint : 1
; COMPUTE_PGM_RSRC2:SCRATCH_EN: 0
; COMPUTE_PGM_RSRC2:USER_SGPR: 2
; COMPUTE_PGM_RSRC2:TRAP_HANDLER: 0
; COMPUTE_PGM_RSRC2:TGID_X_EN: 1
; COMPUTE_PGM_RSRC2:TGID_Y_EN: 0
; COMPUTE_PGM_RSRC2:TGID_Z_EN: 0
; COMPUTE_PGM_RSRC2:TIDIG_COMP_CNT: 0
; COMPUTE_PGM_RSRC3_GFX90A:ACCUM_OFFSET: 63
; COMPUTE_PGM_RSRC3_GFX90A:TG_SPLIT: 0
	.text
	.p2alignl 6, 3212836864
	.fill 256, 4, 3212836864
	.type	__hip_cuid_c7ad5aee47c8c14,@object ; @__hip_cuid_c7ad5aee47c8c14
	.section	.bss,"aw",@nobits
	.globl	__hip_cuid_c7ad5aee47c8c14
__hip_cuid_c7ad5aee47c8c14:
	.byte	0                               ; 0x0
	.size	__hip_cuid_c7ad5aee47c8c14, 1

	.ident	"AMD clang version 19.0.0git (https://github.com/RadeonOpenCompute/llvm-project roc-6.4.0 25133 c7fe45cf4b819c5991fe208aaa96edf142730f1d)"
	.section	".note.GNU-stack","",@progbits
	.addrsig
	.addrsig_sym __hip_cuid_c7ad5aee47c8c14
	.amdgpu_metadata
---
amdhsa.kernels:
  - .agpr_count:     14
    .args:
      - .actual_access:  read_only
        .address_space:  global
        .offset:         0
        .size:           8
        .value_kind:     global_buffer
      - .offset:         8
        .size:           8
        .value_kind:     by_value
      - .actual_access:  read_only
        .address_space:  global
        .offset:         16
        .size:           8
        .value_kind:     global_buffer
      - .actual_access:  read_only
        .address_space:  global
        .offset:         24
        .size:           8
        .value_kind:     global_buffer
      - .actual_access:  read_only
        .address_space:  global
        .offset:         32
        .size:           8
        .value_kind:     global_buffer
      - .offset:         40
        .size:           8
        .value_kind:     by_value
      - .actual_access:  read_only
        .address_space:  global
        .offset:         48
        .size:           8
        .value_kind:     global_buffer
      - .actual_access:  read_only
        .address_space:  global
        .offset:         56
        .size:           8
        .value_kind:     global_buffer
      - .offset:         64
        .size:           4
        .value_kind:     by_value
      - .actual_access:  read_only
        .address_space:  global
        .offset:         72
        .size:           8
        .value_kind:     global_buffer
      - .actual_access:  read_only
        .address_space:  global
        .offset:         80
        .size:           8
        .value_kind:     global_buffer
      - .actual_access:  read_only
        .address_space:  global
        .offset:         88
        .size:           8
        .value_kind:     global_buffer
      - .actual_access:  write_only
        .address_space:  global
        .offset:         96
        .size:           8
        .value_kind:     global_buffer
    .group_segment_fixed_size: 0
    .kernarg_segment_align: 8
    .kernarg_segment_size: 104
    .language:       OpenCL C
    .language_version:
      - 2
      - 0
    .max_flat_workgroup_size: 102
    .name:           fft_rtc_back_len340_factors_17_2_10_wgs_102_tpt_34_halfLds_sp_op_CI_CI_unitstride_sbrr_R2C_dirReg
    .private_segment_fixed_size: 0
    .sgpr_count:     60
    .sgpr_spill_count: 0
    .symbol:         fft_rtc_back_len340_factors_17_2_10_wgs_102_tpt_34_halfLds_sp_op_CI_CI_unitstride_sbrr_R2C_dirReg.kd
    .uniform_work_group_size: 1
    .uses_dynamic_stack: false
    .vgpr_count:     270
    .vgpr_spill_count: 0
    .wavefront_size: 64
amdhsa.target:   amdgcn-amd-amdhsa--gfx950
amdhsa.version:
  - 1
  - 2
...

	.end_amdgpu_metadata
